;; amdgpu-corpus repo=ROCm/rocFFT kind=compiled arch=gfx1201 opt=O3
	.text
	.amdgcn_target "amdgcn-amd-amdhsa--gfx1201"
	.amdhsa_code_object_version 6
	.protected	fft_rtc_back_len1287_factors_3_13_3_11_wgs_117_tpt_117_dp_op_CI_CI_unitstride_sbrr_dirReg ; -- Begin function fft_rtc_back_len1287_factors_3_13_3_11_wgs_117_tpt_117_dp_op_CI_CI_unitstride_sbrr_dirReg
	.globl	fft_rtc_back_len1287_factors_3_13_3_11_wgs_117_tpt_117_dp_op_CI_CI_unitstride_sbrr_dirReg
	.p2align	8
	.type	fft_rtc_back_len1287_factors_3_13_3_11_wgs_117_tpt_117_dp_op_CI_CI_unitstride_sbrr_dirReg,@function
fft_rtc_back_len1287_factors_3_13_3_11_wgs_117_tpt_117_dp_op_CI_CI_unitstride_sbrr_dirReg: ; @fft_rtc_back_len1287_factors_3_13_3_11_wgs_117_tpt_117_dp_op_CI_CI_unitstride_sbrr_dirReg
; %bb.0:
	s_clause 0x2
	s_load_b128 s[8:11], s[0:1], 0x0
	s_load_b128 s[4:7], s[0:1], 0x58
	;; [unrolled: 1-line block ×3, first 2 shown]
	v_mul_u32_u24_e32 v1, 0x231, v0
	v_mov_b32_e32 v4, 0
	v_mov_b32_e32 v5, 0
	s_delay_alu instid0(VALU_DEP_3) | instskip(NEXT) | instid1(VALU_DEP_1)
	v_lshrrev_b32_e32 v2, 16, v1
	v_dual_mov_b32 v1, 0 :: v_dual_add_nc_u32 v6, ttmp9, v2
	s_delay_alu instid0(VALU_DEP_1) | instskip(SKIP_2) | instid1(VALU_DEP_1)
	v_mov_b32_e32 v7, v1
	s_wait_kmcnt 0x0
	v_cmp_lt_u64_e64 s2, s[10:11], 2
	s_and_b32 vcc_lo, exec_lo, s2
	s_cbranch_vccnz .LBB0_8
; %bb.1:
	s_load_b64 s[2:3], s[0:1], 0x10
	v_mov_b32_e32 v4, 0
	v_mov_b32_e32 v5, 0
	s_add_nc_u64 s[16:17], s[14:15], 8
	s_add_nc_u64 s[18:19], s[12:13], 8
	s_mov_b64 s[20:21], 1
	s_delay_alu instid0(VALU_DEP_1)
	v_dual_mov_b32 v53, v5 :: v_dual_mov_b32 v52, v4
	s_wait_kmcnt 0x0
	s_add_nc_u64 s[22:23], s[2:3], 8
	s_mov_b32 s3, 0
.LBB0_2:                                ; =>This Inner Loop Header: Depth=1
	s_load_b64 s[24:25], s[22:23], 0x0
                                        ; implicit-def: $vgpr54_vgpr55
	s_mov_b32 s2, exec_lo
	s_wait_kmcnt 0x0
	v_or_b32_e32 v2, s25, v7
	s_delay_alu instid0(VALU_DEP_1)
	v_cmpx_ne_u64_e32 0, v[1:2]
	s_wait_alu 0xfffe
	s_xor_b32 s26, exec_lo, s2
	s_cbranch_execz .LBB0_4
; %bb.3:                                ;   in Loop: Header=BB0_2 Depth=1
	s_cvt_f32_u32 s2, s24
	s_cvt_f32_u32 s27, s25
	s_sub_nc_u64 s[30:31], 0, s[24:25]
	s_wait_alu 0xfffe
	s_delay_alu instid0(SALU_CYCLE_1) | instskip(SKIP_1) | instid1(SALU_CYCLE_2)
	s_fmamk_f32 s2, s27, 0x4f800000, s2
	s_wait_alu 0xfffe
	v_s_rcp_f32 s2, s2
	s_delay_alu instid0(TRANS32_DEP_1) | instskip(SKIP_1) | instid1(SALU_CYCLE_2)
	s_mul_f32 s2, s2, 0x5f7ffffc
	s_wait_alu 0xfffe
	s_mul_f32 s27, s2, 0x2f800000
	s_wait_alu 0xfffe
	s_delay_alu instid0(SALU_CYCLE_2) | instskip(SKIP_1) | instid1(SALU_CYCLE_2)
	s_trunc_f32 s27, s27
	s_wait_alu 0xfffe
	s_fmamk_f32 s2, s27, 0xcf800000, s2
	s_cvt_u32_f32 s29, s27
	s_wait_alu 0xfffe
	s_delay_alu instid0(SALU_CYCLE_1) | instskip(SKIP_1) | instid1(SALU_CYCLE_2)
	s_cvt_u32_f32 s28, s2
	s_wait_alu 0xfffe
	s_mul_u64 s[34:35], s[30:31], s[28:29]
	s_wait_alu 0xfffe
	s_mul_hi_u32 s37, s28, s35
	s_mul_i32 s36, s28, s35
	s_mul_hi_u32 s2, s28, s34
	s_mul_i32 s33, s29, s34
	s_wait_alu 0xfffe
	s_add_nc_u64 s[36:37], s[2:3], s[36:37]
	s_mul_hi_u32 s27, s29, s34
	s_mul_hi_u32 s38, s29, s35
	s_add_co_u32 s2, s36, s33
	s_wait_alu 0xfffe
	s_add_co_ci_u32 s2, s37, s27
	s_mul_i32 s34, s29, s35
	s_add_co_ci_u32 s35, s38, 0
	s_wait_alu 0xfffe
	s_add_nc_u64 s[34:35], s[2:3], s[34:35]
	s_wait_alu 0xfffe
	v_add_co_u32 v2, s2, s28, s34
	s_delay_alu instid0(VALU_DEP_1) | instskip(SKIP_1) | instid1(VALU_DEP_1)
	s_cmp_lg_u32 s2, 0
	s_add_co_ci_u32 s29, s29, s35
	v_readfirstlane_b32 s28, v2
	s_wait_alu 0xfffe
	s_delay_alu instid0(VALU_DEP_1)
	s_mul_u64 s[30:31], s[30:31], s[28:29]
	s_wait_alu 0xfffe
	s_mul_hi_u32 s35, s28, s31
	s_mul_i32 s34, s28, s31
	s_mul_hi_u32 s2, s28, s30
	s_mul_i32 s33, s29, s30
	s_wait_alu 0xfffe
	s_add_nc_u64 s[34:35], s[2:3], s[34:35]
	s_mul_hi_u32 s27, s29, s30
	s_mul_hi_u32 s28, s29, s31
	s_wait_alu 0xfffe
	s_add_co_u32 s2, s34, s33
	s_add_co_ci_u32 s2, s35, s27
	s_mul_i32 s30, s29, s31
	s_add_co_ci_u32 s31, s28, 0
	s_wait_alu 0xfffe
	s_add_nc_u64 s[30:31], s[2:3], s[30:31]
	s_wait_alu 0xfffe
	v_add_co_u32 v8, s2, v2, s30
	s_delay_alu instid0(VALU_DEP_1) | instskip(SKIP_1) | instid1(VALU_DEP_1)
	s_cmp_lg_u32 s2, 0
	s_add_co_ci_u32 s2, s29, s31
	v_mul_hi_u32 v12, v6, v8
	s_wait_alu 0xfffe
	v_mad_co_u64_u32 v[2:3], null, v6, s2, 0
	v_mad_co_u64_u32 v[8:9], null, v7, v8, 0
	;; [unrolled: 1-line block ×3, first 2 shown]
	s_delay_alu instid0(VALU_DEP_3) | instskip(SKIP_1) | instid1(VALU_DEP_4)
	v_add_co_u32 v2, vcc_lo, v12, v2
	s_wait_alu 0xfffd
	v_add_co_ci_u32_e32 v3, vcc_lo, 0, v3, vcc_lo
	s_delay_alu instid0(VALU_DEP_2) | instskip(SKIP_1) | instid1(VALU_DEP_2)
	v_add_co_u32 v2, vcc_lo, v2, v8
	s_wait_alu 0xfffd
	v_add_co_ci_u32_e32 v2, vcc_lo, v3, v9, vcc_lo
	s_wait_alu 0xfffd
	v_add_co_ci_u32_e32 v3, vcc_lo, 0, v11, vcc_lo
	s_delay_alu instid0(VALU_DEP_2) | instskip(SKIP_1) | instid1(VALU_DEP_2)
	v_add_co_u32 v8, vcc_lo, v2, v10
	s_wait_alu 0xfffd
	v_add_co_ci_u32_e32 v9, vcc_lo, 0, v3, vcc_lo
	s_delay_alu instid0(VALU_DEP_2) | instskip(SKIP_1) | instid1(VALU_DEP_3)
	v_mul_lo_u32 v10, s25, v8
	v_mad_co_u64_u32 v[2:3], null, s24, v8, 0
	v_mul_lo_u32 v11, s24, v9
	s_delay_alu instid0(VALU_DEP_2) | instskip(NEXT) | instid1(VALU_DEP_2)
	v_sub_co_u32 v2, vcc_lo, v6, v2
	v_add3_u32 v3, v3, v11, v10
	s_delay_alu instid0(VALU_DEP_1) | instskip(SKIP_1) | instid1(VALU_DEP_1)
	v_sub_nc_u32_e32 v10, v7, v3
	s_wait_alu 0xfffd
	v_subrev_co_ci_u32_e64 v10, s2, s25, v10, vcc_lo
	v_add_co_u32 v11, s2, v8, 2
	s_wait_alu 0xf1ff
	v_add_co_ci_u32_e64 v12, s2, 0, v9, s2
	v_sub_co_u32 v13, s2, v2, s24
	v_sub_co_ci_u32_e32 v3, vcc_lo, v7, v3, vcc_lo
	s_wait_alu 0xf1ff
	v_subrev_co_ci_u32_e64 v10, s2, 0, v10, s2
	s_delay_alu instid0(VALU_DEP_3) | instskip(NEXT) | instid1(VALU_DEP_3)
	v_cmp_le_u32_e32 vcc_lo, s24, v13
	v_cmp_eq_u32_e64 s2, s25, v3
	s_wait_alu 0xfffd
	v_cndmask_b32_e64 v13, 0, -1, vcc_lo
	v_cmp_le_u32_e32 vcc_lo, s25, v10
	s_wait_alu 0xfffd
	v_cndmask_b32_e64 v14, 0, -1, vcc_lo
	v_cmp_le_u32_e32 vcc_lo, s24, v2
	;; [unrolled: 3-line block ×3, first 2 shown]
	s_wait_alu 0xfffd
	v_cndmask_b32_e64 v15, 0, -1, vcc_lo
	v_cmp_eq_u32_e32 vcc_lo, s25, v10
	s_wait_alu 0xf1ff
	s_delay_alu instid0(VALU_DEP_2)
	v_cndmask_b32_e64 v2, v15, v2, s2
	s_wait_alu 0xfffd
	v_cndmask_b32_e32 v10, v14, v13, vcc_lo
	v_add_co_u32 v13, vcc_lo, v8, 1
	s_wait_alu 0xfffd
	v_add_co_ci_u32_e32 v14, vcc_lo, 0, v9, vcc_lo
	s_delay_alu instid0(VALU_DEP_3) | instskip(SKIP_1) | instid1(VALU_DEP_2)
	v_cmp_ne_u32_e32 vcc_lo, 0, v10
	s_wait_alu 0xfffd
	v_dual_cndmask_b32 v3, v14, v12 :: v_dual_cndmask_b32 v10, v13, v11
	v_cmp_ne_u32_e32 vcc_lo, 0, v2
	s_wait_alu 0xfffd
	s_delay_alu instid0(VALU_DEP_2)
	v_dual_cndmask_b32 v55, v9, v3 :: v_dual_cndmask_b32 v54, v8, v10
.LBB0_4:                                ;   in Loop: Header=BB0_2 Depth=1
	s_wait_alu 0xfffe
	s_and_not1_saveexec_b32 s2, s26
	s_cbranch_execz .LBB0_6
; %bb.5:                                ;   in Loop: Header=BB0_2 Depth=1
	v_cvt_f32_u32_e32 v2, s24
	s_sub_co_i32 s26, 0, s24
	v_mov_b32_e32 v55, v1
	s_delay_alu instid0(VALU_DEP_2) | instskip(NEXT) | instid1(TRANS32_DEP_1)
	v_rcp_iflag_f32_e32 v2, v2
	v_mul_f32_e32 v2, 0x4f7ffffe, v2
	s_delay_alu instid0(VALU_DEP_1) | instskip(SKIP_1) | instid1(VALU_DEP_1)
	v_cvt_u32_f32_e32 v2, v2
	s_wait_alu 0xfffe
	v_mul_lo_u32 v3, s26, v2
	s_delay_alu instid0(VALU_DEP_1) | instskip(NEXT) | instid1(VALU_DEP_1)
	v_mul_hi_u32 v3, v2, v3
	v_add_nc_u32_e32 v2, v2, v3
	s_delay_alu instid0(VALU_DEP_1) | instskip(NEXT) | instid1(VALU_DEP_1)
	v_mul_hi_u32 v2, v6, v2
	v_mul_lo_u32 v3, v2, s24
	v_add_nc_u32_e32 v8, 1, v2
	s_delay_alu instid0(VALU_DEP_2) | instskip(NEXT) | instid1(VALU_DEP_1)
	v_sub_nc_u32_e32 v3, v6, v3
	v_subrev_nc_u32_e32 v9, s24, v3
	v_cmp_le_u32_e32 vcc_lo, s24, v3
	s_wait_alu 0xfffd
	s_delay_alu instid0(VALU_DEP_2) | instskip(NEXT) | instid1(VALU_DEP_1)
	v_dual_cndmask_b32 v3, v3, v9 :: v_dual_cndmask_b32 v2, v2, v8
	v_cmp_le_u32_e32 vcc_lo, s24, v3
	s_delay_alu instid0(VALU_DEP_2) | instskip(SKIP_1) | instid1(VALU_DEP_1)
	v_add_nc_u32_e32 v8, 1, v2
	s_wait_alu 0xfffd
	v_cndmask_b32_e32 v54, v2, v8, vcc_lo
.LBB0_6:                                ;   in Loop: Header=BB0_2 Depth=1
	s_wait_alu 0xfffe
	s_or_b32 exec_lo, exec_lo, s2
	v_mul_lo_u32 v8, v55, s24
	s_delay_alu instid0(VALU_DEP_2)
	v_mul_lo_u32 v9, v54, s25
	s_load_b64 s[26:27], s[18:19], 0x0
	v_mad_co_u64_u32 v[2:3], null, v54, s24, 0
	s_load_b64 s[24:25], s[16:17], 0x0
	s_add_nc_u64 s[20:21], s[20:21], 1
	s_add_nc_u64 s[16:17], s[16:17], 8
	s_wait_alu 0xfffe
	v_cmp_ge_u64_e64 s2, s[20:21], s[10:11]
	s_add_nc_u64 s[18:19], s[18:19], 8
	s_add_nc_u64 s[22:23], s[22:23], 8
	v_add3_u32 v3, v3, v9, v8
	v_sub_co_u32 v2, vcc_lo, v6, v2
	s_wait_alu 0xfffd
	s_delay_alu instid0(VALU_DEP_2) | instskip(SKIP_2) | instid1(VALU_DEP_1)
	v_sub_co_ci_u32_e32 v3, vcc_lo, v7, v3, vcc_lo
	s_and_b32 vcc_lo, exec_lo, s2
	s_wait_kmcnt 0x0
	v_mul_lo_u32 v6, s26, v3
	v_mul_lo_u32 v7, s27, v2
	v_mad_co_u64_u32 v[4:5], null, s26, v2, v[4:5]
	v_mul_lo_u32 v3, s24, v3
	v_mul_lo_u32 v8, s25, v2
	v_mad_co_u64_u32 v[52:53], null, s24, v2, v[52:53]
	s_delay_alu instid0(VALU_DEP_4) | instskip(NEXT) | instid1(VALU_DEP_2)
	v_add3_u32 v5, v7, v5, v6
	v_add3_u32 v53, v8, v53, v3
	s_wait_alu 0xfffe
	s_cbranch_vccnz .LBB0_9
; %bb.7:                                ;   in Loop: Header=BB0_2 Depth=1
	v_dual_mov_b32 v6, v54 :: v_dual_mov_b32 v7, v55
	s_branch .LBB0_2
.LBB0_8:
	v_dual_mov_b32 v53, v5 :: v_dual_mov_b32 v52, v4
	v_dual_mov_b32 v55, v7 :: v_dual_mov_b32 v54, v6
.LBB0_9:
	s_load_b64 s[0:1], s[0:1], 0x28
	v_mul_hi_u32 v1, 0x2302303, v0
	s_lshl_b64 s[10:11], s[10:11], 3
                                        ; implicit-def: $vgpr189
	s_wait_alu 0xfffe
	s_add_nc_u64 s[2:3], s[14:15], s[10:11]
                                        ; implicit-def: $sgpr14
	s_wait_kmcnt 0x0
	v_cmp_gt_u64_e32 vcc_lo, s[0:1], v[54:55]
	v_cmp_le_u64_e64 s0, s[0:1], v[54:55]
	s_delay_alu instid0(VALU_DEP_1)
	s_and_saveexec_b32 s1, s0
	s_wait_alu 0xfffe
	s_xor_b32 s0, exec_lo, s1
; %bb.10:
	v_mul_u32_u24_e32 v1, 0x75, v1
	s_mov_b32 s14, 0
                                        ; implicit-def: $vgpr4_vgpr5
	s_delay_alu instid0(VALU_DEP_1)
	v_sub_nc_u32_e32 v189, v0, v1
                                        ; implicit-def: $vgpr1
                                        ; implicit-def: $vgpr0
; %bb.11:
	s_wait_alu 0xfffe
	s_or_saveexec_b32 s1, s0
	s_load_b64 s[2:3], s[2:3], 0x0
	v_mov_b32_e32 v56, s14
                                        ; implicit-def: $vgpr46_vgpr47
                                        ; implicit-def: $vgpr42_vgpr43
                                        ; implicit-def: $vgpr38_vgpr39
                                        ; implicit-def: $vgpr18_vgpr19
                                        ; implicit-def: $vgpr26_vgpr27
                                        ; implicit-def: $vgpr22_vgpr23
                                        ; implicit-def: $vgpr10_vgpr11
                                        ; implicit-def: $vgpr30_vgpr31
                                        ; implicit-def: $vgpr14_vgpr15
                                        ; implicit-def: $vgpr2_vgpr3
                                        ; implicit-def: $vgpr34_vgpr35
                                        ; implicit-def: $vgpr6_vgpr7
	s_xor_b32 exec_lo, exec_lo, s1
	s_cbranch_execz .LBB0_15
; %bb.12:
	s_add_nc_u64 s[10:11], s[12:13], s[10:11]
                                        ; implicit-def: $vgpr36_vgpr37
                                        ; implicit-def: $vgpr40_vgpr41
                                        ; implicit-def: $vgpr44_vgpr45
	s_load_b64 s[10:11], s[10:11], 0x0
	s_wait_kmcnt 0x0
	v_mul_lo_u32 v6, s11, v54
	v_mul_lo_u32 v7, s10, v55
	v_mad_co_u64_u32 v[2:3], null, s10, v54, 0
	s_delay_alu instid0(VALU_DEP_1) | instskip(SKIP_1) | instid1(VALU_DEP_2)
	v_add3_u32 v3, v3, v7, v6
	v_mul_u32_u24_e32 v6, 0x75, v1
	v_lshlrev_b64_e32 v[1:2], 4, v[2:3]
	v_lshlrev_b64_e32 v[3:4], 4, v[4:5]
	s_delay_alu instid0(VALU_DEP_3) | instskip(NEXT) | instid1(VALU_DEP_3)
	v_sub_nc_u32_e32 v189, v0, v6
	v_add_co_u32 v0, s0, s4, v1
	s_wait_alu 0xf1ff
	s_delay_alu instid0(VALU_DEP_4) | instskip(NEXT) | instid1(VALU_DEP_3)
	v_add_co_ci_u32_e64 v1, s0, s5, v2, s0
	v_lshlrev_b32_e32 v2, 4, v189
	s_delay_alu instid0(VALU_DEP_3) | instskip(SKIP_1) | instid1(VALU_DEP_3)
	v_add_co_u32 v0, s0, v0, v3
	s_wait_alu 0xf1ff
	v_add_co_ci_u32_e64 v1, s0, v1, v4, s0
	s_mov_b32 s4, exec_lo
	s_delay_alu instid0(VALU_DEP_2) | instskip(SKIP_1) | instid1(VALU_DEP_2)
	v_add_co_u32 v46, s0, v0, v2
	s_wait_alu 0xf1ff
	v_add_co_ci_u32_e64 v47, s0, 0, v1, s0
	s_clause 0x8
	global_load_b128 v[4:7], v[46:47], off
	global_load_b128 v[12:15], v[46:47], off offset:1872
	global_load_b128 v[0:3], v[46:47], off offset:13728
	;; [unrolled: 1-line block ×8, first 2 shown]
	v_cmpx_gt_u32_e32 0x4e, v189
; %bb.13:
	s_clause 0x2
	global_load_b128 v[36:39], v[46:47], off offset:5616
	global_load_b128 v[40:43], v[46:47], off offset:12480
	;; [unrolled: 1-line block ×3, first 2 shown]
; %bb.14:
	s_wait_alu 0xfffe
	s_or_b32 exec_lo, exec_lo, s4
	v_mov_b32_e32 v56, v189
.LBB0_15:
	s_or_b32 exec_lo, exec_lo, s1
	s_wait_loadcnt 0x4
	v_add_f64_e32 v[48:49], v[0:1], v[32:33]
	v_add_f64_e32 v[50:51], v[2:3], v[34:35]
	s_wait_loadcnt 0x2
	v_add_f64_e32 v[57:58], v[8:9], v[28:29]
	v_add_f64_e32 v[59:60], v[10:11], v[30:31]
	;; [unrolled: 3-line block ×3, first 2 shown]
	v_add_f64_e32 v[65:66], v[44:45], v[40:41]
	v_add_f64_e32 v[67:68], v[46:47], v[42:43]
	;; [unrolled: 1-line block ×3, first 2 shown]
	v_add_f64_e64 v[71:72], v[34:35], -v[2:3]
	v_add_f64_e32 v[34:35], v[34:35], v[6:7]
	v_add_f64_e32 v[73:74], v[28:29], v[12:13]
	v_add_f64_e32 v[75:76], v[30:31], v[14:15]
	v_add_f64_e32 v[77:78], v[24:25], v[20:21]
	v_add_f64_e32 v[79:80], v[26:27], v[22:23]
	v_add_f64_e32 v[81:82], v[40:41], v[36:37]
	v_add_f64_e32 v[83:84], v[42:43], v[38:39]
	v_add_f64_e64 v[32:33], v[32:33], -v[0:1]
	v_add_f64_e64 v[85:86], v[30:31], -v[10:11]
	;; [unrolled: 1-line block ×5, first 2 shown]
	s_mov_b32 s0, 0xe8584caa
	s_mov_b32 s1, 0xbfebb67a
	s_mov_b32 s5, 0x3febb67a
	s_wait_alu 0xfffe
	s_mov_b32 s4, s0
	v_fma_f64 v[48:49], v[48:49], -0.5, v[4:5]
	v_fma_f64 v[50:51], v[50:51], -0.5, v[6:7]
	v_fma_f64 v[12:13], v[57:58], -0.5, v[12:13]
	v_add_f64_e64 v[57:58], v[28:29], -v[8:9]
	v_fma_f64 v[14:15], v[59:60], -0.5, v[14:15]
	v_fma_f64 v[59:60], v[61:62], -0.5, v[20:21]
	v_add_f64_e64 v[61:62], v[24:25], -v[16:17]
	v_fma_f64 v[63:64], v[63:64], -0.5, v[22:23]
	v_fma_f64 v[65:66], v[65:66], -0.5, v[36:37]
	;; [unrolled: 1-line block ×3, first 2 shown]
	v_add_f64_e32 v[0:1], v[0:1], v[69:70]
	v_add_f64_e32 v[2:3], v[2:3], v[34:35]
	;; [unrolled: 1-line block ×8, first 2 shown]
	v_fma_f64 v[40:41], v[71:72], s[0:1], v[48:49]
	s_wait_alu 0xfffe
	v_fma_f64 v[36:37], v[71:72], s[4:5], v[48:49]
	v_fma_f64 v[42:43], v[32:33], s[4:5], v[50:51]
	;; [unrolled: 1-line block ×15, first 2 shown]
	v_mad_u32_u24 v48, v189, 48, 0
	v_cmp_gt_u32_e64 s0, 0x4e, v189
	ds_store_b128 v48, v[0:3]
	ds_store_b128 v48, v[40:43] offset:16
	ds_store_b128 v48, v[36:39] offset:32
	;; [unrolled: 1-line block ×8, first 2 shown]
	s_and_saveexec_b32 s1, s0
	s_cbranch_execz .LBB0_17
; %bb.16:
	ds_store_b128 v48, v[28:31] offset:16848
	ds_store_b128 v48, v[32:35] offset:16864
	;; [unrolled: 1-line block ×3, first 2 shown]
.LBB0_17:
	s_wait_alu 0xfffe
	s_or_b32 exec_lo, exec_lo, s1
	v_cmp_gt_u32_e64 s1, 0x63, v189
	global_wb scope:SCOPE_SE
	s_wait_dscnt 0x0
	s_wait_kmcnt 0x0
	s_barrier_signal -1
	s_barrier_wait -1
	global_inv scope:SCOPE_SE
                                        ; implicit-def: $vgpr50_vgpr51
	s_and_saveexec_b32 s4, s1
	s_cbranch_execz .LBB0_19
; %bb.18:
	v_lshlrev_b32_e32 v0, 5, v189
	s_delay_alu instid0(VALU_DEP_1)
	v_sub_nc_u32_e32 v48, v48, v0
	ds_load_b128 v[0:3], v48
	ds_load_b128 v[40:43], v48 offset:1584
	ds_load_b128 v[36:39], v48 offset:3168
	;; [unrolled: 1-line block ×12, first 2 shown]
.LBB0_19:
	s_wait_alu 0xfffe
	s_or_b32 exec_lo, exec_lo, s4
	v_and_b32_e32 v190, 0xff, v189
	s_mov_b32 s18, 0x42a4c3d2
	s_mov_b32 s10, 0x1ea71119
	;; [unrolled: 1-line block ×4, first 2 shown]
	v_mul_lo_u16 v57, 0xab, v190
	s_mov_b32 s14, 0xebaa3ed8
	s_mov_b32 s34, 0x66966769
	;; [unrolled: 1-line block ×4, first 2 shown]
	v_lshrrev_b16 v191, 9, v57
	s_mov_b32 s13, 0xbfedeba7
	s_mov_b32 s5, 0xbfd6b1d8
	;; [unrolled: 1-line block ×4, first 2 shown]
	v_mul_lo_u16 v57, v191, 3
	s_mov_b32 s24, 0x4bc48dbf
	s_mov_b32 s16, 0x93053d00
	;; [unrolled: 1-line block ×4, first 2 shown]
	v_sub_nc_u16 v57, v189, v57
	s_mov_b32 s25, 0xbfcea1e5
	s_mov_b32 s17, 0xbfef11f4
	;; [unrolled: 1-line block ×4, first 2 shown]
	v_and_b32_e32 v192, 0xff, v57
	s_mov_b32 s22, 0xe00740e9
	s_mov_b32 s23, 0x3fec55a7
	;; [unrolled: 1-line block ×4, first 2 shown]
	v_mul_u32_u24_e32 v57, 12, v192
	s_mov_b32 s43, 0x3fedeba7
	s_mov_b32 s42, s12
	;; [unrolled: 1-line block ×4, first 2 shown]
	v_lshlrev_b32_e32 v89, 4, v57
	s_wait_alu 0xfffe
	s_mov_b32 s26, s34
	s_mov_b32 s36, s24
	;; [unrolled: 1-line block ×4, first 2 shown]
	s_clause 0xb
	global_load_b128 v[57:60], v89, s[8:9]
	global_load_b128 v[61:64], v89, s[8:9] offset:176
	global_load_b128 v[65:68], v89, s[8:9] offset:16
	;; [unrolled: 1-line block ×11, first 2 shown]
	s_mov_b32 s28, s40
	s_mov_b32 s30, s18
	global_wb scope:SCOPE_SE
	s_wait_loadcnt_dscnt 0x0
	s_barrier_signal -1
	s_barrier_wait -1
	global_inv scope:SCOPE_SE
	v_mul_f64_e32 v[89:90], v[40:41], v[59:60]
	v_mul_f64_e32 v[91:92], v[48:49], v[63:64]
	;; [unrolled: 1-line block ×9, first 2 shown]
	v_fma_f64 v[169:170], v[42:43], v[57:58], -v[89:90]
	v_fma_f64 v[42:43], v[50:51], v[61:62], -v[91:92]
	v_mul_f64_e32 v[50:51], v[20:21], v[75:76]
	v_mul_f64_e32 v[89:90], v[32:33], v[79:80]
	v_fma_f64 v[113:114], v[38:39], v[65:66], -v[93:94]
	v_fma_f64 v[46:47], v[46:47], v[69:70], -v[95:96]
	v_fma_f64 v[115:116], v[40:41], v[57:58], v[59:60]
	v_fma_f64 v[38:39], v[48:49], v[61:62], v[63:64]
	v_mul_f64_e32 v[48:49], v[22:23], v[75:76]
	v_mul_f64_e32 v[57:58], v[16:17], v[83:84]
	;; [unrolled: 1-line block ×4, first 2 shown]
	v_fma_f64 v[135:136], v[36:37], v[65:66], v[67:68]
	v_mul_f64_e32 v[36:37], v[18:19], v[83:84]
	v_mul_f64_e32 v[63:64], v[30:31], v[87:88]
	;; [unrolled: 1-line block ×3, first 2 shown]
	v_add_f64_e64 v[95:96], v[169:170], -v[42:43]
	v_add_f64_e32 v[40:41], v[169:170], v[42:43]
	v_fma_f64 v[109:110], v[22:23], v[73:74], -v[50:51]
	v_fma_f64 v[34:35], v[34:35], v[77:78], -v[89:90]
	v_fma_f64 v[22:23], v[44:45], v[69:70], v[71:72]
	v_add_f64_e64 v[105:106], v[113:114], -v[46:47]
	v_add_f64_e32 v[91:92], v[113:114], v[46:47]
	v_add_f64_e32 v[99:100], v[115:116], v[38:39]
	v_add_f64_e64 v[133:134], v[115:116], -v[38:39]
	v_mul_f64_e32 v[44:45], v[12:13], v[103:104]
	v_mul_f64_e32 v[50:51], v[24:25], v[145:146]
	v_fma_f64 v[187:188], v[20:21], v[73:74], v[48:49]
	v_fma_f64 v[183:184], v[18:19], v[81:82], -v[57:58]
	v_fma_f64 v[18:19], v[32:33], v[77:78], v[59:60]
	v_fma_f64 v[20:21], v[30:31], v[85:86], -v[61:62]
	v_mul_f64_e32 v[69:70], v[14:15], v[103:104]
	v_mul_f64_e32 v[71:72], v[4:5], v[167:168]
	;; [unrolled: 1-line block ×3, first 2 shown]
	v_fma_f64 v[185:186], v[16:17], v[81:82], v[36:37]
	v_fma_f64 v[16:17], v[28:29], v[85:86], v[63:64]
	v_mul_f64_e32 v[103:104], v[10:11], v[195:196]
	v_fma_f64 v[81:82], v[24:25], v[143:144], v[75:76]
	v_mul_f64_e32 v[117:118], s[18:19], v[95:96]
	v_mul_f64_e32 v[123:124], s[10:11], v[40:41]
	;; [unrolled: 1-line block ×6, first 2 shown]
	v_add_f64_e64 v[171:172], v[109:110], -v[34:35]
	v_add_f64_e32 v[121:122], v[109:110], v[34:35]
	v_add_f64_e32 v[107:108], v[135:136], v[22:23]
	v_add_f64_e64 v[175:176], v[135:136], -v[22:23]
	v_mul_f64_e32 v[125:126], s[12:13], v[105:106]
	v_mul_f64_e32 v[129:130], s[4:5], v[91:92]
	;; [unrolled: 1-line block ×6, first 2 shown]
	v_fma_f64 v[161:162], v[14:15], v[101:102], -v[44:45]
	v_fma_f64 v[59:60], v[26:27], v[143:144], -v[50:51]
	v_add_f64_e32 v[119:120], v[187:188], v[18:19]
	v_add_f64_e64 v[179:180], v[187:188], -v[18:19]
	v_add_f64_e64 v[111:112], v[183:184], -v[20:21]
	v_add_f64_e32 v[30:31], v[183:184], v[20:21]
	v_fma_f64 v[167:168], v[12:13], v[101:102], v[69:70]
	v_fma_f64 v[153:154], v[6:7], v[165:166], -v[71:72]
	v_fma_f64 v[127:128], v[10:11], v[193:194], -v[73:74]
	v_add_f64_e32 v[73:74], v[185:186], v[16:17]
	v_add_f64_e64 v[131:132], v[185:186], -v[16:17]
	v_fma_f64 v[165:166], v[4:5], v[165:166], v[97:98]
	v_fma_f64 v[143:144], v[8:9], v[193:194], v[103:104]
	v_fma_f64 v[32:33], v[99:100], s[10:11], -v[117:118]
	v_fma_f64 v[48:49], v[133:134], s[18:19], v[123:124]
	v_fma_f64 v[57:58], v[99:100], s[14:15], -v[157:158]
	;; [unrolled: 2-line block ×3, first 2 shown]
	v_fma_f64 v[67:68], v[133:134], s[12:13], v[177:178]
	v_mul_f64_e32 v[145:146], s[24:25], v[171:172]
	v_mul_f64_e32 v[149:150], s[16:17], v[121:122]
	;; [unrolled: 1-line block ×6, first 2 shown]
	v_fma_f64 v[14:15], v[107:108], s[4:5], -v[125:126]
	v_fma_f64 v[28:29], v[175:176], s[12:13], v[129:130]
	v_fma_f64 v[36:37], v[107:108], s[16:17], -v[137:138]
	v_fma_f64 v[44:45], v[175:176], s[24:25], v[139:140]
	;; [unrolled: 2-line block ×3, first 2 shown]
	v_add_f64_e64 v[93:94], v[161:162], -v[59:60]
	v_add_f64_e32 v[26:27], v[161:162], v[59:60]
	v_mul_f64_e32 v[77:78], s[40:41], v[111:112]
	v_mul_f64_e32 v[79:80], s[20:21], v[30:31]
	v_mul_f64_e32 v[83:84], s[38:39], v[111:112]
	v_mul_f64_e32 v[85:86], s[22:23], v[30:31]
	v_mul_f64_e32 v[87:88], s[34:35], v[111:112]
	v_mul_f64_e32 v[89:90], s[14:15], v[30:31]
	v_add_f64_e64 v[101:102], v[167:168], -v[81:82]
	v_add_f64_e64 v[97:98], v[153:154], -v[127:128]
	v_add_f64_e32 v[24:25], v[153:154], v[127:128]
	v_add_f64_e64 v[103:104], v[165:166], -v[143:144]
	v_add_f64_e32 v[32:33], v[0:1], v[32:33]
	v_add_f64_e32 v[48:49], v[2:3], v[48:49]
	;; [unrolled: 1-line block ×6, first 2 shown]
	v_fma_f64 v[6:7], v[119:120], s[16:17], -v[145:146]
	v_fma_f64 v[10:11], v[179:180], s[24:25], v[149:150]
	v_fma_f64 v[12:13], v[119:120], s[4:5], -v[151:152]
	v_fma_f64 v[195:196], v[179:180], s[42:43], v[155:156]
	;; [unrolled: 2-line block ×3, first 2 shown]
	v_mul_f64_e32 v[71:72], s[36:37], v[93:94]
	v_mul_f64_e32 v[69:70], s[10:11], v[26:27]
	;; [unrolled: 1-line block ×3, first 2 shown]
	v_fma_f64 v[4:5], v[73:74], s[20:21], -v[77:78]
	v_fma_f64 v[8:9], v[131:132], s[40:41], v[79:80]
	v_fma_f64 v[193:194], v[73:74], s[22:23], -v[83:84]
	v_fma_f64 v[201:202], v[131:132], s[38:39], v[85:86]
	;; [unrolled: 2-line block ×3, first 2 shown]
	v_add_f64_e32 v[14:15], v[14:15], v[32:33]
	v_add_f64_e32 v[28:29], v[28:29], v[48:49]
	;; [unrolled: 1-line block ×7, first 2 shown]
	s_wait_alu 0xfffe
	v_mul_f64_e32 v[61:62], s[26:27], v[93:94]
	v_mul_f64_e32 v[65:66], s[14:15], v[26:27]
	;; [unrolled: 1-line block ×5, first 2 shown]
	v_fma_f64 v[211:212], v[101:102], s[18:19], v[69:70]
	v_fma_f64 v[215:216], v[101:102], s[36:37], v[75:76]
	v_add_f64_e32 v[6:7], v[6:7], v[14:15]
	v_add_f64_e32 v[10:11], v[10:11], v[28:29]
	;; [unrolled: 1-line block ×7, first 2 shown]
	v_mul_f64_e32 v[32:33], s[38:39], v[97:98]
	v_mul_f64_e32 v[36:37], s[22:23], v[24:25]
	;; [unrolled: 1-line block ×4, first 2 shown]
	v_fma_f64 v[199:200], v[48:49], s[14:15], -v[61:62]
	v_fma_f64 v[207:208], v[101:102], s[26:27], v[65:66]
	v_fma_f64 v[209:210], v[48:49], s[10:11], -v[67:68]
	v_fma_f64 v[213:214], v[48:49], s[16:17], -v[71:72]
	v_add_f64_e32 v[4:5], v[4:5], v[6:7]
	v_add_f64_e32 v[6:7], v[8:9], v[10:11]
	;; [unrolled: 1-line block ×6, first 2 shown]
	v_fma_f64 v[203:204], v[28:29], s[10:11], -v[57:58]
	v_fma_f64 v[193:194], v[28:29], s[22:23], -v[32:33]
	v_fma_f64 v[195:196], v[103:104], s[38:39], v[36:37]
	v_fma_f64 v[197:198], v[28:29], s[20:21], -v[44:45]
	v_fma_f64 v[201:202], v[103:104], s[28:29], v[50:51]
	v_fma_f64 v[205:206], v[103:104], s[30:31], v[63:64]
	v_add_f64_e32 v[4:5], v[199:200], v[4:5]
	v_add_f64_e32 v[6:7], v[207:208], v[6:7]
	;; [unrolled: 1-line block ×12, first 2 shown]
	s_and_saveexec_b32 s33, s1
	s_cbranch_execz .LBB0_21
; %bb.20:
	v_add_f64_e32 v[169:170], v[2:3], v[169:170]
	v_add_f64_e32 v[115:116], v[0:1], v[115:116]
	v_mul_f64_e32 v[193:194], s[14:15], v[99:100]
	v_mul_f64_e32 v[195:196], s[10:11], v[99:100]
	;; [unrolled: 1-line block ×25, first 2 shown]
	v_add_f64_e32 v[113:114], v[169:170], v[113:114]
	v_add_f64_e32 v[115:116], v[115:116], v[135:136]
	v_mul_f64_e32 v[135:136], s[12:13], v[133:134]
	v_mul_f64_e32 v[169:170], s[4:5], v[99:100]
	v_add_f64_e32 v[157:158], v[193:194], v[157:158]
	v_mul_f64_e32 v[193:194], s[4:5], v[107:108]
	v_add_f64_e64 v[123:124], v[123:124], -v[197:198]
	v_add_f64_e32 v[117:118], v[195:196], v[117:118]
	v_add_f64_e64 v[147:148], v[147:148], -v[215:216]
	v_add_f64_e64 v[181:182], v[181:182], -v[199:200]
	v_mul_f64_e32 v[199:200], s[26:27], v[105:106]
	v_add_f64_e32 v[141:142], v[223:224], v[141:142]
	v_fma_f64 v[223:224], v[40:41], s[20:21], v[211:212]
	v_add_f64_e64 v[155:156], v[155:156], -v[225:226]
	v_fma_f64 v[211:212], v[40:41], s[20:21], -v[211:212]
	v_mul_f64_e32 v[197:198], s[28:29], v[171:172]
	v_mul_f64_e32 v[195:196], s[18:19], v[171:172]
	;; [unrolled: 1-line block ×4, first 2 shown]
	v_add_f64_e64 v[149:150], v[149:150], -v[235:236]
	v_add_f64_e32 v[137:138], v[233:234], v[137:138]
	v_fma_f64 v[233:234], v[121:122], s[20:21], v[239:240]
	v_fma_f64 v[239:240], v[121:122], s[20:21], -v[239:240]
	v_add_f64_e64 v[129:130], v[129:130], -v[241:242]
	v_add_f64_e64 v[139:140], v[139:140], -v[227:228]
	v_add_f64_e32 v[159:160], v[219:220], v[159:160]
	v_mul_f64_e32 v[219:220], s[30:31], v[111:112]
	v_mul_f64_e32 v[227:228], s[36:37], v[131:132]
	v_add_f64_e32 v[151:152], v[231:232], v[151:152]
	v_mul_f64_e32 v[231:232], s[36:37], v[111:112]
	v_mul_f64_e32 v[111:112], s[12:13], v[111:112]
	v_add_f64_e64 v[89:90], v[89:90], -v[217:218]
	v_add_f64_e64 v[85:86], v[85:86], -v[201:202]
	;; [unrolled: 1-line block ×3, first 2 shown]
	v_add_f64_e32 v[83:84], v[229:230], v[83:84]
	v_add_f64_e32 v[87:88], v[221:222], v[87:88]
	;; [unrolled: 1-line block ×4, first 2 shown]
	v_mul_f64_e32 v[187:188], s[34:35], v[133:134]
	v_mul_f64_e32 v[109:110], s[38:39], v[103:104]
	s_mov_b32 s39, 0xbfddbe06
	v_add_f64_e64 v[135:136], v[177:178], -v[135:136]
	s_wait_alu 0xfffe
	v_mul_f64_e32 v[133:134], s[38:39], v[133:134]
	v_mul_f64_e32 v[177:178], s[16:17], v[119:120]
	v_add_f64_e32 v[169:170], v[169:170], v[173:174]
	v_mul_f64_e32 v[173:174], s[18:19], v[179:180]
	v_mul_f64_e32 v[179:180], s[34:35], v[179:180]
	v_add_f64_e32 v[125:126], v[193:194], v[125:126]
	v_add_f64_e32 v[123:124], v[2:3], v[123:124]
	;; [unrolled: 1-line block ×5, first 2 shown]
	v_fma_f64 v[201:202], v[30:31], s[16:17], -v[227:228]
	v_fma_f64 v[217:218], v[73:74], s[16:17], v[231:232]
	v_add_f64_e32 v[113:114], v[113:114], v[183:184]
	v_add_f64_e32 v[115:116], v[115:116], v[185:186]
	v_mul_f64_e32 v[183:184], s[24:25], v[95:96]
	v_mul_f64_e32 v[185:186], s[28:29], v[95:96]
	;; [unrolled: 1-line block ×3, first 2 shown]
	v_add_f64_e64 v[163:164], v[163:164], -v[187:188]
	v_mul_f64_e32 v[187:188], s[26:27], v[175:176]
	v_mul_f64_e32 v[175:176], s[18:19], v[175:176]
	v_fma_f64 v[235:236], v[40:41], s[22:23], v[133:134]
	v_fma_f64 v[241:242], v[121:122], s[10:11], v[173:174]
	v_add_f64_e32 v[145:146], v[177:178], v[145:146]
	v_fma_f64 v[173:174], v[121:122], s[10:11], -v[173:174]
	v_fma_f64 v[193:194], v[121:122], s[14:15], v[179:180]
	v_fma_f64 v[121:122], v[121:122], s[14:15], -v[179:180]
	v_add_f64_e32 v[135:136], v[2:3], v[135:136]
	v_add_f64_e32 v[169:170], v[0:1], v[169:170]
	;; [unrolled: 1-line block ×5, first 2 shown]
	v_mul_f64_e32 v[157:158], s[26:27], v[103:104]
	v_mul_f64_e32 v[129:130], s[26:27], v[97:98]
	v_mul_f64_e32 v[125:126], s[12:13], v[103:104]
	v_add_f64_e64 v[36:37], v[36:37], -v[109:110]
	v_add_f64_e32 v[113:114], v[113:114], v[161:162]
	v_add_f64_e32 v[115:116], v[115:116], v[167:168]
	v_fma_f64 v[167:168], v[40:41], s[16:17], v[205:206]
	v_fma_f64 v[215:216], v[99:100], s[16:17], -v[183:184]
	v_fma_f64 v[205:206], v[40:41], s[16:17], -v[205:206]
	;; [unrolled: 1-line block ×3, first 2 shown]
	v_fma_f64 v[185:186], v[99:100], s[20:21], v[185:186]
	v_fma_f64 v[183:184], v[99:100], s[16:17], v[183:184]
	v_fma_f64 v[40:41], v[40:41], s[22:23], -v[133:134]
	v_fma_f64 v[133:134], v[99:100], s[22:23], -v[95:96]
	v_fma_f64 v[95:96], v[99:100], s[22:23], v[95:96]
	v_fma_f64 v[99:100], v[91:92], s[22:23], v[203:204]
	v_fma_f64 v[203:204], v[91:92], s[22:23], -v[203:204]
	v_fma_f64 v[177:178], v[91:92], s[14:15], v[187:188]
	v_fma_f64 v[187:188], v[91:92], s[14:15], -v[187:188]
	v_add_f64_e32 v[163:164], v[2:3], v[163:164]
	v_add_f64_e32 v[235:236], v[2:3], v[235:236]
	v_mul_f64_e32 v[161:162], s[30:31], v[131:132]
	v_mul_f64_e32 v[131:132], s[12:13], v[131:132]
	v_add_f64_e32 v[135:136], v[147:148], v[135:136]
	v_add_f64_e32 v[141:142], v[141:142], v[169:170]
	v_mul_f64_e32 v[147:148], s[12:13], v[93:94]
	v_add_f64_e32 v[123:124], v[149:150], v[123:124]
	v_add_f64_e32 v[117:118], v[145:146], v[117:118]
	v_mul_f64_e32 v[93:94], s[28:29], v[93:94]
	v_add_f64_e32 v[137:138], v[151:152], v[137:138]
	v_fma_f64 v[151:152], v[26:27], s[22:23], -v[209:210]
	v_fma_f64 v[149:150], v[48:49], s[22:23], -v[213:214]
	v_mul_f64_e32 v[169:170], s[10:11], v[28:29]
	v_add_f64_e32 v[113:114], v[113:114], v[153:154]
	v_add_f64_e32 v[115:116], v[115:116], v[165:166]
	v_fma_f64 v[153:154], v[91:92], s[10:11], v[175:176]
	v_add_f64_e32 v[165:166], v[2:3], v[167:168]
	v_fma_f64 v[167:168], v[107:108], s[22:23], -v[207:208]
	v_add_f64_e32 v[179:180], v[0:1], v[215:216]
	v_fma_f64 v[91:92], v[91:92], s[10:11], -v[175:176]
	v_add_f64_e32 v[175:176], v[2:3], v[205:206]
	v_add_f64_e32 v[215:216], v[2:3], v[223:224]
	v_fma_f64 v[223:224], v[107:108], s[14:15], -v[199:200]
	v_fma_f64 v[199:200], v[107:108], s[14:15], v[199:200]
	v_add_f64_e32 v[185:186], v[0:1], v[185:186]
	v_fma_f64 v[205:206], v[107:108], s[22:23], v[207:208]
	v_add_f64_e32 v[183:184], v[0:1], v[183:184]
	v_add_f64_e32 v[225:226], v[0:1], v[225:226]
	v_fma_f64 v[207:208], v[119:120], s[20:21], -v[197:198]
	v_fma_f64 v[197:198], v[119:120], s[20:21], v[197:198]
	v_add_f64_e32 v[133:134], v[0:1], v[133:134]
	v_add_f64_e32 v[2:3], v[2:3], v[40:41]
	;; [unrolled: 1-line block ×3, first 2 shown]
	v_fma_f64 v[40:41], v[119:120], s[10:11], -v[195:196]
	v_fma_f64 v[95:96], v[119:120], s[10:11], v[195:196]
	v_fma_f64 v[195:196], v[119:120], s[14:15], -v[171:172]
	v_fma_f64 v[119:120], v[119:120], s[14:15], v[171:172]
	;; [unrolled: 2-line block ×3, first 2 shown]
	v_mul_f64_e32 v[107:108], s[20:21], v[73:74]
	v_add_f64_e32 v[139:140], v[139:140], v[163:164]
	v_add_f64_e32 v[187:188], v[187:188], v[211:212]
	;; [unrolled: 1-line block ×5, first 2 shown]
	v_mul_f64_e32 v[211:212], s[28:29], v[103:104]
	v_add_f64_e32 v[83:84], v[83:84], v[137:138]
	v_mul_f64_e32 v[163:164], s[30:31], v[103:104]
	v_mul_f64_e32 v[103:104], s[24:25], v[103:104]
	v_fma_f64 v[123:124], v[24:25], s[4:5], -v[125:126]
	v_add_f64_e32 v[57:58], v[169:170], v[57:58]
	v_add_f64_e32 v[113:114], v[113:114], v[127:128]
	;; [unrolled: 1-line block ×5, first 2 shown]
	v_mul_f64_e32 v[127:128], s[14:15], v[48:49]
	v_add_f64_e32 v[167:168], v[167:168], v[179:180]
	v_mul_f64_e32 v[143:144], s[26:27], v[101:102]
	v_add_f64_e32 v[175:176], v[203:204], v[175:176]
	v_add_f64_e32 v[177:178], v[177:178], v[215:216]
	v_mul_f64_e32 v[179:180], s[18:19], v[101:102]
	v_mul_f64_e32 v[165:166], s[10:11], v[48:49]
	v_add_f64_e32 v[185:186], v[199:200], v[185:186]
	v_mul_f64_e32 v[199:200], s[12:13], v[101:102]
	v_add_f64_e32 v[183:184], v[205:206], v[183:184]
	v_add_f64_e32 v[223:224], v[223:224], v[225:226]
	v_mul_f64_e32 v[205:206], s[36:37], v[101:102]
	v_mul_f64_e32 v[101:102], s[28:29], v[101:102]
	;; [unrolled: 1-line block ×3, first 2 shown]
	v_add_f64_e32 v[2:3], v[91:92], v[2:3]
	v_mul_f64_e32 v[215:216], s[22:23], v[28:29]
	v_mul_f64_e32 v[225:226], s[20:21], v[28:29]
	;; [unrolled: 1-line block ×4, first 2 shown]
	v_add_f64_e32 v[91:92], v[171:172], v[133:134]
	v_add_f64_e32 v[0:1], v[105:106], v[0:1]
	v_fma_f64 v[105:106], v[30:31], s[10:11], v[161:162]
	v_fma_f64 v[133:134], v[73:74], s[10:11], v[219:220]
	v_fma_f64 v[171:172], v[73:74], s[16:17], -v[231:232]
	v_add_f64_e32 v[77:78], v[107:108], v[77:78]
	v_fma_f64 v[107:108], v[30:31], s[4:5], v[131:132]
	v_add_f64_e32 v[139:140], v[155:156], v[139:140]
	v_add_f64_e32 v[173:174], v[173:174], v[187:188]
	;; [unrolled: 1-line block ×4, first 2 shown]
	v_add_f64_e64 v[50:51], v[50:51], -v[211:212]
	v_add_f64_e64 v[63:64], v[63:64], -v[163:164]
	v_fma_f64 v[109:110], v[24:25], s[16:17], v[103:104]
	v_add_f64_e32 v[59:60], v[113:114], v[59:60]
	v_add_f64_e32 v[81:82], v[115:116], v[81:82]
	v_fma_f64 v[113:114], v[73:74], s[10:11], -v[219:220]
	v_fma_f64 v[115:116], v[30:31], s[10:11], -v[161:162]
	v_fma_f64 v[161:162], v[30:31], s[16:17], v[227:228]
	v_fma_f64 v[30:31], v[30:31], s[4:5], -v[131:132]
	v_fma_f64 v[131:132], v[73:74], s[4:5], -v[111:112]
	v_fma_f64 v[73:74], v[73:74], s[4:5], v[111:112]
	v_add_f64_e32 v[111:112], v[207:208], v[167:168]
	v_add_f64_e32 v[167:168], v[239:240], v[175:176]
	;; [unrolled: 1-line block ×8, first 2 shown]
	v_add_f64_e64 v[65:66], v[65:66], -v[143:144]
	v_add_f64_e32 v[61:62], v[127:128], v[61:62]
	v_add_f64_e32 v[2:3], v[121:122], v[2:3]
	v_fma_f64 v[121:122], v[48:49], s[4:5], v[147:148]
	v_fma_f64 v[127:128], v[26:27], s[20:21], v[101:102]
	;; [unrolled: 1-line block ×3, first 2 shown]
	v_add_f64_e64 v[69:70], v[69:70], -v[179:180]
	v_add_f64_e32 v[67:68], v[165:166], v[67:68]
	v_fma_f64 v[143:144], v[48:49], s[20:21], -v[93:94]
	v_add_f64_e32 v[0:1], v[119:120], v[0:1]
	v_fma_f64 v[119:120], v[26:27], s[4:5], -v[199:200]
	v_add_f64_e64 v[75:76], v[75:76], -v[205:206]
	v_add_f64_e32 v[71:72], v[203:204], v[71:72]
	v_add_f64_e32 v[77:78], v[77:78], v[117:118]
	;; [unrolled: 1-line block ×4, first 2 shown]
	v_fma_f64 v[117:118], v[28:29], s[4:5], -v[235:236]
	v_fma_f64 v[103:104], v[24:25], s[16:17], -v[103:104]
	v_add_f64_e32 v[20:21], v[59:60], v[20:21]
	v_add_f64_e32 v[16:17], v[81:82], v[16:17]
	;; [unrolled: 1-line block ×3, first 2 shown]
	v_fma_f64 v[81:82], v[26:27], s[4:5], v[199:200]
	v_fma_f64 v[91:92], v[48:49], s[4:5], -v[147:148]
	v_fma_f64 v[147:148], v[26:27], s[22:23], v[209:210]
	v_fma_f64 v[26:27], v[26:27], s[20:21], -v[101:102]
	v_fma_f64 v[48:49], v[48:49], s[20:21], v[93:94]
	v_add_f64_e32 v[101:102], v[115:116], v[167:168]
	v_add_f64_e32 v[93:94], v[105:106], v[99:100]
	;; [unrolled: 1-line block ×11, first 2 shown]
	v_fma_f64 v[115:116], v[24:25], s[4:5], v[125:126]
	v_fma_f64 v[125:126], v[28:29], s[4:5], v[235:236]
	;; [unrolled: 1-line block ×3, first 2 shown]
	v_add_f64_e32 v[67:68], v[67:68], v[83:84]
	v_add_f64_e32 v[0:1], v[73:74], v[0:1]
	v_fma_f64 v[73:74], v[28:29], s[14:15], v[129:130]
	v_add_f64_e32 v[75:76], v[75:76], v[89:90]
	v_add_f64_e32 v[71:72], v[71:72], v[87:88]
	;; [unrolled: 1-line block ×7, first 2 shown]
	v_fma_f64 v[34:35], v[28:29], s[14:15], -v[129:130]
	v_fma_f64 v[59:60], v[24:25], s[14:15], -v[157:158]
	v_add_f64_e32 v[129:130], v[225:226], v[44:45]
	v_fma_f64 v[131:132], v[28:29], s[16:17], -v[97:98]
	v_fma_f64 v[97:98], v[28:29], s[16:17], v[97:98]
	v_add_f64_e32 v[44:45], v[119:120], v[101:102]
	v_add_f64_e32 v[24:25], v[81:82], v[93:94]
	;; [unrolled: 1-line block ×15, first 2 shown]
	v_and_b32_e32 v36, 0xffff, v191
	v_lshlrev_b32_e32 v37, 4, v192
	v_add_f64_e32 v[18:19], v[59:60], v[44:45]
	v_add_f64_e32 v[44:45], v[32:33], v[61:62]
	;; [unrolled: 1-line block ×15, first 2 shown]
	v_mul_u32_u24_e32 v36, 0x270, v36
	v_add_f64_e32 v[48:49], v[97:98], v[48:49]
	s_delay_alu instid0(VALU_DEP_2)
	v_add3_u32 v36, 0, v36, v37
	v_add_f64_e32 v[59:60], v[85:86], v[42:43]
	v_add_f64_e32 v[57:58], v[87:88], v[38:39]
	;; [unrolled: 1-line block ×3, first 2 shown]
	ds_store_b128 v36, v[8:11] offset:480
	ds_store_b128 v36, v[12:15] offset:528
	;; [unrolled: 1-line block ×10, first 2 shown]
	ds_store_b128 v36, v[57:60]
	ds_store_b128 v36, v[48:51] offset:48
	ds_store_b128 v36, v[38:41] offset:576
.LBB0_21:
	s_or_b32 exec_lo, exec_lo, s33
	v_lshl_add_u32 v48, v189, 4, 0
	global_wb scope:SCOPE_SE
	s_wait_dscnt 0x0
	s_barrier_signal -1
	s_barrier_wait -1
	global_inv scope:SCOPE_SE
	ds_load_b128 v[16:19], v48
	ds_load_b128 v[0:3], v48 offset:1872
	ds_load_b128 v[36:39], v48 offset:13728
	;; [unrolled: 1-line block ×8, first 2 shown]
	s_and_saveexec_b32 s1, s0
	s_cbranch_execz .LBB0_23
; %bb.22:
	ds_load_b128 v[4:7], v48 offset:5616
	ds_load_b128 v[8:11], v48 offset:12480
	;; [unrolled: 1-line block ×3, first 2 shown]
.LBB0_23:
	s_wait_alu 0xfffe
	s_or_b32 exec_lo, exec_lo, s1
	v_add_nc_u16 v49, v189, 0x75
	v_mul_lo_u16 v50, 0xa5, v190
	v_add_nc_u32_e32 v57, 0xea, v189
	s_mov_b32 s4, 0xe8584caa
	s_mov_b32 s5, 0xbfebb67a
	v_and_b32_e32 v51, 0xff, v49
	v_lshrrev_b16 v50, 8, v50
	v_and_b32_e32 v58, 0xffff, v57
	s_mov_b32 s11, 0x3febb67a
	s_wait_alu 0xfffe
	s_mov_b32 s10, s4
	v_mul_lo_u16 v51, 0xa5, v51
	v_sub_nc_u16 v59, v189, v50
	v_mul_u32_u24_e32 v58, 0xa41b, v58
	s_delay_alu instid0(VALU_DEP_3) | instskip(NEXT) | instid1(VALU_DEP_3)
	v_lshrrev_b16 v51, 8, v51
	v_lshrrev_b16 v59, 1, v59
	s_delay_alu instid0(VALU_DEP_3) | instskip(NEXT) | instid1(VALU_DEP_3)
	v_lshrrev_b32_e32 v58, 16, v58
	v_sub_nc_u16 v60, v49, v51
	s_delay_alu instid0(VALU_DEP_3) | instskip(NEXT) | instid1(VALU_DEP_3)
	v_and_b32_e32 v59, 0x7f, v59
	v_sub_nc_u16 v61, v57, v58
	s_delay_alu instid0(VALU_DEP_3) | instskip(NEXT) | instid1(VALU_DEP_3)
	v_lshrrev_b16 v60, 1, v60
	v_add_nc_u16 v50, v59, v50
	s_delay_alu instid0(VALU_DEP_2) | instskip(NEXT) | instid1(VALU_DEP_4)
	v_and_b32_e32 v59, 0x7f, v60
	v_lshrrev_b16 v60, 1, v61
	s_delay_alu instid0(VALU_DEP_3) | instskip(NEXT) | instid1(VALU_DEP_3)
	v_lshrrev_b16 v50, 5, v50
	v_add_nc_u16 v51, v59, v51
	s_delay_alu instid0(VALU_DEP_3) | instskip(NEXT) | instid1(VALU_DEP_3)
	v_add_nc_u16 v58, v60, v58
	v_and_b32_e32 v91, 7, v50
	s_delay_alu instid0(VALU_DEP_3) | instskip(NEXT) | instid1(VALU_DEP_3)
	v_lshrrev_b16 v50, 5, v51
	v_lshrrev_b16 v51, 5, v58
	s_delay_alu instid0(VALU_DEP_3) | instskip(NEXT) | instid1(VALU_DEP_3)
	v_mul_lo_u16 v58, v91, 39
	v_and_b32_e32 v92, 7, v50
	s_delay_alu instid0(VALU_DEP_3) | instskip(NEXT) | instid1(VALU_DEP_3)
	v_mul_lo_u16 v50, v51, 39
	v_sub_nc_u16 v58, v189, v58
	s_delay_alu instid0(VALU_DEP_3) | instskip(NEXT) | instid1(VALU_DEP_3)
	v_mul_lo_u16 v59, v92, 39
	v_sub_nc_u16 v50, v57, v50
	s_delay_alu instid0(VALU_DEP_3) | instskip(NEXT) | instid1(VALU_DEP_3)
	v_and_b32_e32 v93, 0xff, v58
	v_sub_nc_u16 v49, v49, v59
	s_delay_alu instid0(VALU_DEP_3) | instskip(NEXT) | instid1(VALU_DEP_3)
	v_and_b32_e32 v94, 0xffff, v50
	v_lshlrev_b32_e32 v50, 5, v93
	s_delay_alu instid0(VALU_DEP_3) | instskip(NEXT) | instid1(VALU_DEP_3)
	v_and_b32_e32 v95, 0xff, v49
	v_lshlrev_b32_e32 v49, 5, v94
	global_load_b128 v[57:60], v50, s[8:9] offset:576
	v_lshlrev_b32_e32 v77, 5, v95
	s_clause 0x4
	global_load_b128 v[61:64], v50, s[8:9] offset:592
	global_load_b128 v[65:68], v49, s[8:9] offset:576
	;; [unrolled: 1-line block ×5, first 2 shown]
	global_wb scope:SCOPE_SE
	s_wait_loadcnt_dscnt 0x0
	s_barrier_signal -1
	s_barrier_wait -1
	global_inv scope:SCOPE_SE
	v_mul_f64_e32 v[49:50], v[46:47], v[59:60]
	v_mul_f64_e32 v[59:60], v[44:45], v[59:60]
	;; [unrolled: 1-line block ×12, first 2 shown]
	v_fma_f64 v[44:45], v[44:45], v[57:58], v[49:50]
	v_fma_f64 v[46:47], v[46:47], v[57:58], -v[59:60]
	v_fma_f64 v[36:37], v[36:37], v[61:62], v[81:82]
	v_fma_f64 v[38:39], v[38:39], v[61:62], -v[63:64]
	v_fma_f64 v[28:29], v[28:29], v[65:66], v[83:84]
	v_fma_f64 v[32:33], v[32:33], v[69:70], v[85:86]
	;; [unrolled: 1-line block ×4, first 2 shown]
	v_fma_f64 v[42:43], v[42:43], v[73:74], -v[75:76]
	v_fma_f64 v[26:27], v[26:27], v[77:78], -v[79:80]
	;; [unrolled: 1-line block ×4, first 2 shown]
	v_add_f64_e32 v[67:68], v[16:17], v[44:45]
	v_add_f64_e32 v[49:50], v[44:45], v[36:37]
	;; [unrolled: 1-line block ×3, first 2 shown]
	v_add_f64_e64 v[69:70], v[46:47], -v[38:39]
	v_add_f64_e32 v[59:60], v[28:29], v[32:33]
	v_add_f64_e32 v[46:47], v[18:19], v[46:47]
	;; [unrolled: 1-line block ×3, first 2 shown]
	v_add_f64_e64 v[44:45], v[44:45], -v[36:37]
	v_add_f64_e32 v[63:64], v[42:43], v[26:27]
	v_add_f64_e32 v[73:74], v[22:23], v[30:31]
	v_add_f64_e32 v[65:66], v[30:31], v[34:35]
	v_add_f64_e32 v[75:76], v[0:1], v[40:41]
	v_add_f64_e32 v[77:78], v[2:3], v[42:43]
	v_add_f64_e64 v[79:80], v[30:31], -v[34:35]
	v_add_f64_e64 v[42:43], v[42:43], -v[26:27]
	v_add_f64_e32 v[71:72], v[20:21], v[28:29]
	v_add_f64_e64 v[81:82], v[28:29], -v[32:33]
	v_fma_f64 v[49:50], v[49:50], -0.5, v[16:17]
	v_fma_f64 v[30:31], v[57:58], -0.5, v[18:19]
	v_fma_f64 v[57:58], v[59:60], -0.5, v[20:21]
	v_fma_f64 v[59:60], v[61:62], -0.5, v[0:1]
	v_add_f64_e64 v[61:62], v[40:41], -v[24:25]
	v_fma_f64 v[63:64], v[63:64], -0.5, v[2:3]
	v_add_f64_e32 v[0:1], v[67:68], v[36:37]
	v_fma_f64 v[65:66], v[65:66], -0.5, v[22:23]
	v_add_f64_e32 v[2:3], v[46:47], v[38:39]
	v_add_f64_e32 v[20:21], v[75:76], v[24:25]
	;; [unrolled: 1-line block ×5, first 2 shown]
	v_fma_f64 v[24:25], v[69:70], s[4:5], v[49:50]
	s_wait_alu 0xfffe
	v_fma_f64 v[26:27], v[44:45], s[10:11], v[30:31]
	v_fma_f64 v[28:29], v[69:70], s[10:11], v[49:50]
	v_fma_f64 v[30:31], v[44:45], s[4:5], v[30:31]
	v_fma_f64 v[32:33], v[79:80], s[4:5], v[57:58]
	v_fma_f64 v[36:37], v[42:43], s[4:5], v[59:60]
	v_fma_f64 v[40:41], v[42:43], s[10:11], v[59:60]
	v_fma_f64 v[38:39], v[61:62], s[10:11], v[63:64]
	v_fma_f64 v[42:43], v[61:62], s[4:5], v[63:64]
	v_fma_f64 v[34:35], v[81:82], s[10:11], v[65:66]
	v_fma_f64 v[44:45], v[79:80], s[10:11], v[57:58]
	v_fma_f64 v[46:47], v[81:82], s[4:5], v[65:66]
	v_and_b32_e32 v49, 0xffff, v91
	v_and_b32_e32 v50, 0xffff, v51
	;; [unrolled: 1-line block ×3, first 2 shown]
	v_lshlrev_b32_e32 v57, 4, v93
	v_lshlrev_b32_e32 v58, 4, v94
	v_mul_u32_u24_e32 v49, 0x750, v49
	v_mul_u32_u24_e32 v50, 0x750, v50
	;; [unrolled: 1-line block ×3, first 2 shown]
	s_delay_alu instid0(VALU_DEP_3) | instskip(SKIP_1) | instid1(VALU_DEP_4)
	v_add3_u32 v49, 0, v49, v57
	v_lshlrev_b32_e32 v57, 4, v95
	v_add3_u32 v50, 0, v50, v58
	s_delay_alu instid0(VALU_DEP_2)
	v_add3_u32 v51, 0, v51, v57
	ds_store_b128 v49, v[0:3]
	ds_store_b128 v49, v[24:27] offset:624
	ds_store_b128 v49, v[28:31] offset:1248
	ds_store_b128 v51, v[20:23]
	ds_store_b128 v51, v[36:39] offset:624
	ds_store_b128 v51, v[40:43] offset:1248
	;; [unrolled: 3-line block ×3, first 2 shown]
	s_and_saveexec_b32 s1, s0
	s_cbranch_execz .LBB0_25
; %bb.24:
	v_add_nc_u32_e32 v0, 0x15f, v189
	s_delay_alu instid0(VALU_DEP_1) | instskip(NEXT) | instid1(VALU_DEP_1)
	v_and_b32_e32 v1, 0xffff, v0
	v_mul_u32_u24_e32 v1, 0xa41b, v1
	s_delay_alu instid0(VALU_DEP_1) | instskip(NEXT) | instid1(VALU_DEP_1)
	v_lshrrev_b32_e32 v1, 16, v1
	v_sub_nc_u16 v2, v0, v1
	s_delay_alu instid0(VALU_DEP_1) | instskip(NEXT) | instid1(VALU_DEP_1)
	v_lshrrev_b16 v2, 1, v2
	v_add_nc_u16 v1, v2, v1
	s_delay_alu instid0(VALU_DEP_1) | instskip(NEXT) | instid1(VALU_DEP_1)
	v_lshrrev_b16 v24, 5, v1
	v_mul_lo_u16 v1, v24, 39
	s_delay_alu instid0(VALU_DEP_1) | instskip(NEXT) | instid1(VALU_DEP_1)
	v_sub_nc_u16 v0, v0, v1
	v_and_b32_e32 v25, 0xffff, v0
	s_delay_alu instid0(VALU_DEP_1)
	v_lshlrev_b32_e32 v16, 5, v25
	s_clause 0x1
	global_load_b128 v[0:3], v16, s[8:9] offset:576
	global_load_b128 v[16:19], v16, s[8:9] offset:592
	s_wait_loadcnt 0x1
	v_mul_f64_e32 v[20:21], v[8:9], v[2:3]
	s_wait_loadcnt 0x0
	v_mul_f64_e32 v[22:23], v[12:13], v[18:19]
	v_mul_f64_e32 v[2:3], v[10:11], v[2:3]
	;; [unrolled: 1-line block ×3, first 2 shown]
	s_delay_alu instid0(VALU_DEP_4) | instskip(NEXT) | instid1(VALU_DEP_4)
	v_fma_f64 v[10:11], v[10:11], v[0:1], -v[20:21]
	v_fma_f64 v[14:15], v[14:15], v[16:17], -v[22:23]
	s_delay_alu instid0(VALU_DEP_4) | instskip(NEXT) | instid1(VALU_DEP_4)
	v_fma_f64 v[0:1], v[8:9], v[0:1], v[2:3]
	v_fma_f64 v[8:9], v[12:13], v[16:17], v[18:19]
	s_delay_alu instid0(VALU_DEP_4) | instskip(NEXT) | instid1(VALU_DEP_4)
	v_add_f64_e32 v[18:19], v[6:7], v[10:11]
	v_add_f64_e32 v[2:3], v[10:11], v[14:15]
	v_add_f64_e64 v[22:23], v[10:11], -v[14:15]
	s_delay_alu instid0(VALU_DEP_4)
	v_add_f64_e32 v[12:13], v[0:1], v[8:9]
	v_add_f64_e64 v[16:17], v[0:1], -v[8:9]
	v_add_f64_e32 v[0:1], v[4:5], v[0:1]
	v_fma_f64 v[20:21], v[2:3], -0.5, v[6:7]
	v_add_f64_e32 v[2:3], v[18:19], v[14:15]
	v_fma_f64 v[4:5], v[12:13], -0.5, v[4:5]
	v_mul_lo_u16 v12, 0x75, v24
	v_add_f64_e32 v[0:1], v[0:1], v[8:9]
	v_lshlrev_b32_e32 v13, 4, v25
	s_delay_alu instid0(VALU_DEP_3) | instskip(NEXT) | instid1(VALU_DEP_1)
	v_and_b32_e32 v12, 0xffff, v12
	v_lshlrev_b32_e32 v12, 4, v12
	s_delay_alu instid0(VALU_DEP_1)
	v_add3_u32 v12, 0, v13, v12
	v_fma_f64 v[10:11], v[16:17], s[10:11], v[20:21]
	v_fma_f64 v[6:7], v[16:17], s[4:5], v[20:21]
	;; [unrolled: 1-line block ×4, first 2 shown]
	ds_store_b128 v12, v[0:3]
	ds_store_b128 v12, v[8:11] offset:624
	ds_store_b128 v12, v[4:7] offset:1248
.LBB0_25:
	s_wait_alu 0xfffe
	s_or_b32 exec_lo, exec_lo, s1
	global_wb scope:SCOPE_SE
	s_wait_dscnt 0x0
	s_barrier_signal -1
	s_barrier_wait -1
	global_inv scope:SCOPE_SE
	s_and_saveexec_b32 s0, vcc_lo
	s_cbranch_execz .LBB0_27
; %bb.26:
	v_mul_u32_u24_e32 v0, 10, v189
	s_mov_b32 s18, 0xbb3a28a1
	s_mov_b32 s22, 0xfd768dbf
	;; [unrolled: 1-line block ×4, first 2 shown]
	v_lshlrev_b32_e32 v16, 4, v0
	s_mov_b32 s17, 0x3fed1bb4
	s_mov_b32 s16, 0x8eee2c13
	s_mov_b32 s14, 0x43842ef
	s_mov_b32 s20, 0xf8bb580b
	s_clause 0x9
	global_load_b128 v[0:3], v16, s[8:9] offset:1824
	global_load_b128 v[4:7], v16, s[8:9] offset:1888
	;; [unrolled: 1-line block ×10, first 2 shown]
	ds_load_b128 v[42:45], v48 offset:1872
	ds_load_b128 v[57:60], v48 offset:9360
	;; [unrolled: 1-line block ×10, first 2 shown]
	s_mov_b32 s15, 0xbfefac9e
	s_mov_b32 s21, 0x3fe14ced
	s_mov_b32 s25, 0xbfe14ced
	s_wait_alu 0xfffe
	s_mov_b32 s24, s20
	s_mov_b32 s8, 0x7f775887
	;; [unrolled: 1-line block ×15, first 2 shown]
	s_wait_loadcnt_dscnt 0x909
	v_mul_f64_e32 v[16:17], v[42:43], v[2:3]
	v_mul_f64_e32 v[2:3], v[2:3], v[44:45]
	s_wait_loadcnt_dscnt 0x808
	v_mul_f64_e32 v[46:47], v[6:7], v[59:60]
	s_wait_loadcnt_dscnt 0x707
	v_mul_f64_e32 v[49:50], v[10:11], v[63:64]
	v_mul_f64_e32 v[6:7], v[57:58], v[6:7]
	v_mul_f64_e32 v[10:11], v[61:62], v[10:11]
	s_wait_loadcnt_dscnt 0x606
	v_mul_f64_e32 v[93:94], v[14:15], v[67:68]
	s_wait_loadcnt_dscnt 0x505
	v_mul_f64_e32 v[95:96], v[20:21], v[71:72]
	;; [unrolled: 6-line block ×3, first 2 shown]
	s_wait_loadcnt_dscnt 0x202
	v_mul_f64_e32 v[101:102], v[32:33], v[83:84]
	v_mul_f64_e32 v[24:25], v[73:74], v[24:25]
	;; [unrolled: 1-line block ×4, first 2 shown]
	s_wait_loadcnt_dscnt 0x0
	v_mul_f64_e32 v[105:106], v[40:41], v[91:92]
	v_mul_f64_e32 v[40:41], v[89:90], v[40:41]
	;; [unrolled: 1-line block ×4, first 2 shown]
	v_fma_f64 v[44:45], v[0:1], v[44:45], -v[16:17]
	v_fma_f64 v[42:43], v[0:1], v[42:43], v[2:3]
	ds_load_b128 v[0:3], v48
	v_fma_f64 v[46:47], v[4:5], v[57:58], v[46:47]
	v_fma_f64 v[48:49], v[8:9], v[61:62], v[49:50]
	v_fma_f64 v[50:51], v[4:5], v[59:60], -v[6:7]
	v_fma_f64 v[57:58], v[8:9], v[63:64], -v[10:11]
	v_fma_f64 v[59:60], v[12:13], v[65:66], v[93:94]
	v_fma_f64 v[16:17], v[18:19], v[69:70], v[95:96]
	v_fma_f64 v[61:62], v[12:13], v[67:68], -v[14:15]
	v_fma_f64 v[18:19], v[18:19], v[71:72], -v[20:21]
	v_fma_f64 v[20:21], v[22:23], v[73:74], v[97:98]
	v_fma_f64 v[12:13], v[26:27], v[77:78], v[99:100]
	;; [unrolled: 1-line block ×3, first 2 shown]
	v_fma_f64 v[22:23], v[22:23], v[75:76], -v[24:25]
	v_fma_f64 v[14:15], v[26:27], v[79:80], -v[28:29]
	v_fma_f64 v[24:25], v[30:31], v[83:84], -v[32:33]
	v_fma_f64 v[4:5], v[38:39], v[89:90], v[105:106]
	v_fma_f64 v[6:7], v[38:39], v[91:92], -v[40:41]
	v_fma_f64 v[8:9], v[34:35], v[85:86], v[103:104]
	v_fma_f64 v[10:11], v[34:35], v[87:88], -v[36:37]
	s_wait_dscnt 0x0
	v_add_f64_e32 v[26:27], v[2:3], v[44:45]
	v_add_f64_e32 v[28:29], v[42:43], v[0:1]
	v_add_f64_e64 v[30:31], v[46:47], -v[48:49]
	v_add_f64_e32 v[79:80], v[46:47], v[48:49]
	v_add_f64_e64 v[40:41], v[50:51], -v[57:58]
	;; [unrolled: 2-line block ×7, first 2 shown]
	v_add_f64_e64 v[71:72], v[44:45], -v[6:7]
	v_add_f64_e64 v[36:37], v[63:64], -v[8:9]
	;; [unrolled: 1-line block ×3, first 2 shown]
	v_add_f64_e32 v[44:45], v[44:45], v[6:7]
	v_add_f64_e32 v[42:43], v[42:43], v[4:5]
	;; [unrolled: 1-line block ×6, first 2 shown]
	v_mul_f64_e32 v[105:106], s[16:17], v[30:31]
	v_mul_f64_e32 v[85:86], s[14:15], v[30:31]
	v_mul_f64_e32 v[95:96], s[14:15], v[40:41]
	v_mul_f64_e32 v[121:122], s[18:19], v[30:31]
	v_mul_f64_e32 v[87:88], s[16:17], v[32:33]
	v_mul_f64_e32 v[107:108], s[22:23], v[32:33]
	v_mul_f64_e32 v[97:98], s[16:17], v[65:66]
	v_mul_f64_e32 v[113:114], s[22:23], v[65:66]
	v_mul_f64_e32 v[125:126], s[16:17], v[34:35]
	s_wait_alu 0xfffe
	v_mul_f64_e32 v[109:110], s[24:25], v[34:35]
	v_mul_f64_e32 v[89:90], s[18:19], v[34:35]
	;; [unrolled: 1-line block ×25, first 2 shown]
	v_add_f64_e32 v[22:23], v[22:23], v[26:27]
	v_add_f64_e32 v[20:21], v[20:21], v[28:29]
	v_mul_f64_e32 v[26:27], s[18:19], v[38:39]
	v_mul_f64_e32 v[28:29], s[16:17], v[40:41]
	s_mov_b32 s17, 0xbfed1bb4
	v_mul_f64_e32 v[143:144], s[26:27], v[32:33]
	s_wait_alu 0xfffe
	v_mul_f64_e32 v[38:39], s[16:17], v[38:39]
	v_mul_f64_e32 v[71:72], s[16:17], v[71:72]
	;; [unrolled: 1-line block ×8, first 2 shown]
	v_fma_f64 v[161:162], v[77:78], s[8:9], v[89:90]
	v_fma_f64 v[89:90], v[77:78], s[8:9], -v[89:90]
	v_mul_f64_e32 v[141:142], s[20:21], v[30:31]
	v_fma_f64 v[165:166], v[44:45], s[4:5], v[93:94]
	v_fma_f64 v[175:176], v[42:43], s[4:5], -v[103:104]
	v_fma_f64 v[179:180], v[42:43], s[8:9], -v[119:120]
	v_fma_f64 v[119:120], v[42:43], s[8:9], v[119:120]
	v_fma_f64 v[93:94], v[44:45], s[4:5], -v[93:94]
	v_fma_f64 v[103:104], v[42:43], s[4:5], v[103:104]
	v_fma_f64 v[181:182], v[44:45], s[12:13], v[129:130]
	v_fma_f64 v[183:184], v[42:43], s[12:13], -v[139:140]
	v_fma_f64 v[129:130], v[44:45], s[12:13], -v[129:130]
	v_fma_f64 v[139:140], v[42:43], s[12:13], v[139:140]
	v_fma_f64 v[185:186], v[44:45], s[10:11], v[157:158]
	v_fma_f64 v[187:188], v[42:43], s[10:11], -v[159:160]
	v_fma_f64 v[157:158], v[44:45], s[10:11], -v[157:158]
	v_fma_f64 v[163:164], v[24:25], s[10:11], v[91:92]
	v_fma_f64 v[173:174], v[63:64], s[10:11], -v[101:102]
	v_fma_f64 v[91:92], v[24:25], s[10:11], -v[91:92]
	v_fma_f64 v[101:102], v[63:64], s[10:11], v[101:102]
	v_fma_f64 v[193:194], v[24:25], s[8:9], v[147:148]
	v_fma_f64 v[195:196], v[63:64], s[8:9], -v[155:156]
	v_fma_f64 v[147:148], v[24:25], s[8:9], -v[147:148]
	v_fma_f64 v[155:156], v[63:64], s[8:9], v[155:156]
	v_add_f64_e32 v[22:23], v[61:62], v[22:23]
	v_add_f64_e32 v[20:21], v[59:60], v[20:21]
	v_mul_f64_e32 v[59:60], s[16:17], v[69:70]
	v_fma_f64 v[177:178], v[44:45], s[8:9], v[26:27]
	v_fma_f64 v[26:27], v[44:45], s[8:9], -v[26:27]
	v_fma_f64 v[171:172], v[83:84], s[8:9], -v[99:100]
	;; [unrolled: 1-line block ×3, first 2 shown]
	v_fma_f64 v[191:192], v[42:43], s[0:1], v[71:72]
	v_fma_f64 v[38:39], v[44:45], s[0:1], v[38:39]
	v_fma_f64 v[44:45], v[42:43], s[0:1], -v[71:72]
	v_fma_f64 v[42:43], v[42:43], s[10:11], v[159:160]
	v_fma_f64 v[71:72], v[24:25], s[12:13], -v[111:112]
	v_fma_f64 v[159:160], v[63:64], s[4:5], -v[137:138]
	v_fma_f64 v[137:138], v[63:64], s[4:5], v[137:138]
	v_fma_f64 v[197:198], v[24:25], s[0:1], v[36:37]
	;; [unrolled: 1-line block ×4, first 2 shown]
	v_fma_f64 v[203:204], v[83:84], s[12:13], -v[67:68]
	v_fma_f64 v[34:35], v[77:78], s[12:13], -v[34:35]
	v_fma_f64 v[67:68], v[83:84], s[12:13], v[67:68]
	v_add_f64_e32 v[119:120], v[0:1], v[119:120]
	v_add_f64_e32 v[93:94], v[2:3], v[93:94]
	;; [unrolled: 1-line block ×3, first 2 shown]
	v_mul_f64_e32 v[149:150], s[20:21], v[40:41]
	v_mul_f64_e32 v[30:31], s[22:23], v[30:31]
	v_add_f64_e32 v[129:130], v[2:3], v[129:130]
	v_add_f64_e32 v[139:140], v[0:1], v[139:140]
	v_mul_f64_e32 v[40:41], s[22:23], v[40:41]
	v_fma_f64 v[69:70], v[75:76], s[0:1], v[87:88]
	v_add_f64_e32 v[157:158], v[2:3], v[157:158]
	v_fma_f64 v[169:170], v[81:82], s[0:1], -v[97:98]
	v_fma_f64 v[87:88], v[75:76], s[0:1], -v[87:88]
	v_fma_f64 v[97:98], v[81:82], s[0:1], v[97:98]
	v_fma_f64 v[61:62], v[73:74], s[12:13], v[85:86]
	v_fma_f64 v[167:168], v[79:80], s[12:13], -v[95:96]
	v_fma_f64 v[85:86], v[73:74], s[12:13], -v[85:86]
	v_fma_f64 v[95:96], v[79:80], s[12:13], v[95:96]
	v_add_f64_e32 v[22:23], v[50:51], v[22:23]
	v_add_f64_e32 v[20:21], v[46:47], v[20:21]
	v_fma_f64 v[46:47], v[24:25], s[12:13], v[111:112]
	v_fma_f64 v[50:51], v[63:64], s[12:13], -v[117:118]
	v_fma_f64 v[111:112], v[63:64], s[12:13], v[117:118]
	v_fma_f64 v[117:118], v[24:25], s[4:5], v[127:128]
	v_fma_f64 v[127:128], v[24:25], s[4:5], -v[127:128]
	v_fma_f64 v[199:200], v[63:64], s[0:1], -v[59:60]
	;; [unrolled: 1-line block ×3, first 2 shown]
	v_fma_f64 v[36:37], v[63:64], s[0:1], v[59:60]
	v_add_f64_e32 v[59:60], v[2:3], v[165:166]
	v_add_f64_e32 v[63:64], v[0:1], v[175:176]
	;; [unrolled: 1-line block ×14, first 2 shown]
	v_fma_f64 v[42:43], v[77:78], s[10:11], v[109:110]
	v_fma_f64 v[44:45], v[83:84], s[10:11], -v[115:116]
	v_fma_f64 v[189:190], v[77:78], s[4:5], v[145:146]
	v_fma_f64 v[191:192], v[83:84], s[4:5], -v[153:154]
	v_fma_f64 v[145:146], v[77:78], s[4:5], -v[145:146]
	v_fma_f64 v[153:154], v[83:84], s[4:5], v[153:154]
	v_add_f64_e32 v[22:23], v[57:58], v[22:23]
	v_add_f64_e32 v[20:21], v[48:49], v[20:21]
	v_fma_f64 v[48:49], v[77:78], s[10:11], -v[109:110]
	v_fma_f64 v[57:58], v[83:84], s[10:11], v[115:116]
	v_fma_f64 v[109:110], v[77:78], s[0:1], v[125:126]
	v_fma_f64 v[115:116], v[83:84], s[0:1], -v[135:136]
	v_fma_f64 v[125:126], v[77:78], s[0:1], -v[125:126]
	v_fma_f64 v[135:136], v[83:84], s[0:1], v[135:136]
	v_add_f64_e32 v[77:78], v[91:92], v[93:94]
	v_add_f64_e32 v[83:84], v[101:102], v[103:104]
	v_add_f64_e32 v[59:60], v[163:164], v[59:60]
	v_add_f64_e32 v[63:64], v[173:174], v[63:64]
	v_add_f64_e32 v[46:47], v[46:47], v[165:166]
	v_add_f64_e32 v[50:51], v[50:51], v[175:176]
	v_add_f64_e32 v[26:27], v[71:72], v[26:27]
	v_add_f64_e32 v[71:72], v[111:112], v[119:120]
	v_add_f64_e32 v[91:92], v[117:118], v[177:178]
	v_add_f64_e32 v[101:102], v[127:128], v[129:130]
	v_add_f64_e32 v[103:104], v[137:138], v[139:140]
	v_add_f64_e32 v[24:25], v[24:25], v[157:158]
	v_add_f64_e32 v[119:120], v[147:148], v[185:186]
	v_add_f64_e32 v[127:128], v[155:156], v[187:188]
	v_add_f64_e32 v[93:94], v[159:160], v[179:180]
	v_add_f64_e32 v[2:3], v[193:194], v[2:3]
	v_add_f64_e32 v[38:39], v[195:196], v[38:39]
	v_add_f64_e32 v[111:112], v[197:198], v[181:182]
	v_add_f64_e32 v[117:118], v[199:200], v[183:184]
	v_add_f64_e32 v[0:1], v[36:37], v[0:1]
	v_fma_f64 v[36:37], v[75:76], s[4:5], -v[107:108]
	v_fma_f64 v[137:138], v[75:76], s[12:13], v[143:144]
	v_fma_f64 v[139:140], v[81:82], s[12:13], -v[151:152]
	v_fma_f64 v[143:144], v[75:76], s[12:13], -v[143:144]
	v_fma_f64 v[147:148], v[81:82], s[12:13], v[151:152]
	v_fma_f64 v[151:152], v[75:76], s[8:9], v[32:33]
	v_fma_f64 v[32:33], v[75:76], s[8:9], -v[32:33]
	v_fma_f64 v[129:130], v[81:82], s[10:11], -v[133:134]
	v_fma_f64 v[133:134], v[81:82], s[10:11], v[133:134]
	v_fma_f64 v[155:156], v[81:82], s[8:9], -v[65:66]
	v_add_f64_e32 v[18:19], v[18:19], v[22:23]
	v_add_f64_e32 v[16:17], v[16:17], v[20:21]
	v_fma_f64 v[20:21], v[75:76], s[4:5], v[107:108]
	v_fma_f64 v[22:23], v[81:82], s[4:5], -v[113:114]
	v_fma_f64 v[107:108], v[81:82], s[4:5], v[113:114]
	v_fma_f64 v[113:114], v[75:76], s[10:11], v[123:124]
	v_fma_f64 v[123:124], v[75:76], s[10:11], -v[123:124]
	v_fma_f64 v[65:66], v[81:82], s[8:9], v[65:66]
	v_add_f64_e32 v[75:76], v[89:90], v[77:78]
	v_add_f64_e32 v[77:78], v[99:100], v[83:84]
	;; [unrolled: 1-line block ×20, first 2 shown]
	v_fma_f64 v[67:68], v[73:74], s[0:1], -v[105:106]
	v_fma_f64 v[91:92], v[73:74], s[8:9], v[121:122]
	v_fma_f64 v[93:94], v[79:80], s[8:9], -v[131:132]
	v_fma_f64 v[99:100], v[73:74], s[8:9], -v[121:122]
	v_fma_f64 v[101:102], v[79:80], s[8:9], v[131:132]
	v_fma_f64 v[103:104], v[73:74], s[10:11], v[141:142]
	v_fma_f64 v[109:110], v[73:74], s[10:11], -v[141:142]
	v_fma_f64 v[111:112], v[79:80], s[10:11], v[149:150]
	v_fma_f64 v[115:116], v[73:74], s[4:5], v[30:31]
	v_fma_f64 v[117:118], v[79:80], s[4:5], -v[40:41]
	v_add_f64_e32 v[14:15], v[14:15], v[18:19]
	v_add_f64_e32 v[12:13], v[12:13], v[16:17]
	v_fma_f64 v[16:17], v[73:74], s[0:1], v[105:106]
	v_fma_f64 v[18:19], v[79:80], s[0:1], -v[28:29]
	v_fma_f64 v[28:29], v[79:80], s[0:1], v[28:29]
	v_fma_f64 v[105:106], v[79:80], s[10:11], -v[149:150]
	v_fma_f64 v[73:74], v[73:74], s[4:5], -v[30:31]
	v_fma_f64 v[79:80], v[79:80], s[4:5], v[40:41]
	v_add_f64_e32 v[30:31], v[69:70], v[59:60]
	v_add_f64_e32 v[40:41], v[169:170], v[63:64]
	;; [unrolled: 1-line block ×20, first 2 shown]
	v_mul_lo_u32 v87, s3, v54
	v_mul_lo_u32 v88, s2, v55
	v_mad_co_u64_u32 v[54:55], null, s2, v54, 0
	v_add_f64_e32 v[81:82], v[10:11], v[14:15]
	v_add_f64_e32 v[83:84], v[8:9], v[12:13]
	s_delay_alu instid0(VALU_DEP_3)
	v_add3_u32 v55, v55, v88, v87
	v_add_f64_e32 v[2:3], v[61:62], v[30:31]
	v_add_f64_e32 v[0:1], v[167:168], v[40:41]
	;; [unrolled: 1-line block ×18, first 2 shown]
	v_mov_b32_e32 v57, 0
	v_add_f64_e32 v[34:35], v[73:74], v[32:33]
	v_add_f64_e32 v[32:33], v[79:80], v[65:66]
	v_lshlrev_b64_e32 v[44:45], 4, v[54:55]
	v_lshlrev_b64_e32 v[46:47], 4, v[52:53]
	s_delay_alu instid0(VALU_DEP_2)
	v_add_co_u32 v48, vcc_lo, s6, v44
	v_add_f64_e32 v[6:7], v[6:7], v[81:82]
	v_add_f64_e32 v[4:5], v[4:5], v[83:84]
	s_wait_alu 0xfffd
	v_add_co_ci_u32_e32 v49, vcc_lo, s7, v45, vcc_lo
	v_lshlrev_b64_e32 v[44:45], 4, v[56:57]
	v_add_co_u32 v46, vcc_lo, v48, v46
	s_wait_alu 0xfffd
	s_delay_alu instid0(VALU_DEP_3) | instskip(NEXT) | instid1(VALU_DEP_2)
	v_add_co_ci_u32_e32 v47, vcc_lo, v49, v47, vcc_lo
	v_add_co_u32 v44, vcc_lo, v46, v44
	s_wait_alu 0xfffd
	s_delay_alu instid0(VALU_DEP_2)
	v_add_co_ci_u32_e32 v45, vcc_lo, v47, v45, vcc_lo
	s_clause 0xa
	global_store_b128 v[44:45], v[16:19], off offset:7488
	global_store_b128 v[44:45], v[8:11], off offset:9360
	;; [unrolled: 1-line block ×8, first 2 shown]
	global_store_b128 v[44:45], v[4:7], off
	global_store_b128 v[44:45], v[32:35], off offset:1872
	global_store_b128 v[44:45], v[28:31], off offset:18720
.LBB0_27:
	s_nop 0
	s_sendmsg sendmsg(MSG_DEALLOC_VGPRS)
	s_endpgm
	.section	.rodata,"a",@progbits
	.p2align	6, 0x0
	.amdhsa_kernel fft_rtc_back_len1287_factors_3_13_3_11_wgs_117_tpt_117_dp_op_CI_CI_unitstride_sbrr_dirReg
		.amdhsa_group_segment_fixed_size 0
		.amdhsa_private_segment_fixed_size 0
		.amdhsa_kernarg_size 104
		.amdhsa_user_sgpr_count 2
		.amdhsa_user_sgpr_dispatch_ptr 0
		.amdhsa_user_sgpr_queue_ptr 0
		.amdhsa_user_sgpr_kernarg_segment_ptr 1
		.amdhsa_user_sgpr_dispatch_id 0
		.amdhsa_user_sgpr_private_segment_size 0
		.amdhsa_wavefront_size32 1
		.amdhsa_uses_dynamic_stack 0
		.amdhsa_enable_private_segment 0
		.amdhsa_system_sgpr_workgroup_id_x 1
		.amdhsa_system_sgpr_workgroup_id_y 0
		.amdhsa_system_sgpr_workgroup_id_z 0
		.amdhsa_system_sgpr_workgroup_info 0
		.amdhsa_system_vgpr_workitem_id 0
		.amdhsa_next_free_vgpr 243
		.amdhsa_next_free_sgpr 44
		.amdhsa_reserve_vcc 1
		.amdhsa_float_round_mode_32 0
		.amdhsa_float_round_mode_16_64 0
		.amdhsa_float_denorm_mode_32 3
		.amdhsa_float_denorm_mode_16_64 3
		.amdhsa_fp16_overflow 0
		.amdhsa_workgroup_processor_mode 1
		.amdhsa_memory_ordered 1
		.amdhsa_forward_progress 0
		.amdhsa_round_robin_scheduling 0
		.amdhsa_exception_fp_ieee_invalid_op 0
		.amdhsa_exception_fp_denorm_src 0
		.amdhsa_exception_fp_ieee_div_zero 0
		.amdhsa_exception_fp_ieee_overflow 0
		.amdhsa_exception_fp_ieee_underflow 0
		.amdhsa_exception_fp_ieee_inexact 0
		.amdhsa_exception_int_div_zero 0
	.end_amdhsa_kernel
	.text
.Lfunc_end0:
	.size	fft_rtc_back_len1287_factors_3_13_3_11_wgs_117_tpt_117_dp_op_CI_CI_unitstride_sbrr_dirReg, .Lfunc_end0-fft_rtc_back_len1287_factors_3_13_3_11_wgs_117_tpt_117_dp_op_CI_CI_unitstride_sbrr_dirReg
                                        ; -- End function
	.section	.AMDGPU.csdata,"",@progbits
; Kernel info:
; codeLenInByte = 9900
; NumSgprs: 46
; NumVgprs: 243
; ScratchSize: 0
; MemoryBound: 1
; FloatMode: 240
; IeeeMode: 1
; LDSByteSize: 0 bytes/workgroup (compile time only)
; SGPRBlocks: 5
; VGPRBlocks: 30
; NumSGPRsForWavesPerEU: 46
; NumVGPRsForWavesPerEU: 243
; Occupancy: 5
; WaveLimiterHint : 1
; COMPUTE_PGM_RSRC2:SCRATCH_EN: 0
; COMPUTE_PGM_RSRC2:USER_SGPR: 2
; COMPUTE_PGM_RSRC2:TRAP_HANDLER: 0
; COMPUTE_PGM_RSRC2:TGID_X_EN: 1
; COMPUTE_PGM_RSRC2:TGID_Y_EN: 0
; COMPUTE_PGM_RSRC2:TGID_Z_EN: 0
; COMPUTE_PGM_RSRC2:TIDIG_COMP_CNT: 0
	.text
	.p2alignl 7, 3214868480
	.fill 96, 4, 3214868480
	.type	__hip_cuid_5a20978c639a7912,@object ; @__hip_cuid_5a20978c639a7912
	.section	.bss,"aw",@nobits
	.globl	__hip_cuid_5a20978c639a7912
__hip_cuid_5a20978c639a7912:
	.byte	0                               ; 0x0
	.size	__hip_cuid_5a20978c639a7912, 1

	.ident	"AMD clang version 19.0.0git (https://github.com/RadeonOpenCompute/llvm-project roc-6.4.0 25133 c7fe45cf4b819c5991fe208aaa96edf142730f1d)"
	.section	".note.GNU-stack","",@progbits
	.addrsig
	.addrsig_sym __hip_cuid_5a20978c639a7912
	.amdgpu_metadata
---
amdhsa.kernels:
  - .args:
      - .actual_access:  read_only
        .address_space:  global
        .offset:         0
        .size:           8
        .value_kind:     global_buffer
      - .offset:         8
        .size:           8
        .value_kind:     by_value
      - .actual_access:  read_only
        .address_space:  global
        .offset:         16
        .size:           8
        .value_kind:     global_buffer
      - .actual_access:  read_only
        .address_space:  global
        .offset:         24
        .size:           8
        .value_kind:     global_buffer
      - .actual_access:  read_only
        .address_space:  global
        .offset:         32
        .size:           8
        .value_kind:     global_buffer
      - .offset:         40
        .size:           8
        .value_kind:     by_value
      - .actual_access:  read_only
        .address_space:  global
        .offset:         48
        .size:           8
        .value_kind:     global_buffer
      - .actual_access:  read_only
        .address_space:  global
        .offset:         56
        .size:           8
        .value_kind:     global_buffer
      - .offset:         64
        .size:           4
        .value_kind:     by_value
      - .actual_access:  read_only
        .address_space:  global
        .offset:         72
        .size:           8
        .value_kind:     global_buffer
      - .actual_access:  read_only
        .address_space:  global
        .offset:         80
        .size:           8
        .value_kind:     global_buffer
      - .actual_access:  read_only
        .address_space:  global
        .offset:         88
        .size:           8
        .value_kind:     global_buffer
      - .actual_access:  write_only
        .address_space:  global
        .offset:         96
        .size:           8
        .value_kind:     global_buffer
    .group_segment_fixed_size: 0
    .kernarg_segment_align: 8
    .kernarg_segment_size: 104
    .language:       OpenCL C
    .language_version:
      - 2
      - 0
    .max_flat_workgroup_size: 117
    .name:           fft_rtc_back_len1287_factors_3_13_3_11_wgs_117_tpt_117_dp_op_CI_CI_unitstride_sbrr_dirReg
    .private_segment_fixed_size: 0
    .sgpr_count:     46
    .sgpr_spill_count: 0
    .symbol:         fft_rtc_back_len1287_factors_3_13_3_11_wgs_117_tpt_117_dp_op_CI_CI_unitstride_sbrr_dirReg.kd
    .uniform_work_group_size: 1
    .uses_dynamic_stack: false
    .vgpr_count:     243
    .vgpr_spill_count: 0
    .wavefront_size: 32
    .workgroup_processor_mode: 1
amdhsa.target:   amdgcn-amd-amdhsa--gfx1201
amdhsa.version:
  - 1
  - 2
...

	.end_amdgpu_metadata
